;; amdgpu-corpus repo=ROCm/rocFFT kind=compiled arch=gfx1030 opt=O3
	.text
	.amdgcn_target "amdgcn-amd-amdhsa--gfx1030"
	.amdhsa_code_object_version 6
	.protected	fft_rtc_fwd_len2016_factors_2_2_2_2_2_3_3_7_wgs_224_tpt_112_halfLds_half_ip_CI_unitstride_sbrr_dirReg ; -- Begin function fft_rtc_fwd_len2016_factors_2_2_2_2_2_3_3_7_wgs_224_tpt_112_halfLds_half_ip_CI_unitstride_sbrr_dirReg
	.globl	fft_rtc_fwd_len2016_factors_2_2_2_2_2_3_3_7_wgs_224_tpt_112_halfLds_half_ip_CI_unitstride_sbrr_dirReg
	.p2align	8
	.type	fft_rtc_fwd_len2016_factors_2_2_2_2_2_3_3_7_wgs_224_tpt_112_halfLds_half_ip_CI_unitstride_sbrr_dirReg,@function
fft_rtc_fwd_len2016_factors_2_2_2_2_2_3_3_7_wgs_224_tpt_112_halfLds_half_ip_CI_unitstride_sbrr_dirReg: ; @fft_rtc_fwd_len2016_factors_2_2_2_2_2_3_3_7_wgs_224_tpt_112_halfLds_half_ip_CI_unitstride_sbrr_dirReg
; %bb.0:
	s_clause 0x2
	s_load_dwordx4 s[8:11], s[4:5], 0x0
	s_load_dwordx2 s[2:3], s[4:5], 0x50
	s_load_dwordx2 s[12:13], s[4:5], 0x18
	v_mul_u32_u24_e32 v1, 0x24a, v0
	v_mov_b32_e32 v3, 0
	v_lshrrev_b32_e32 v9, 16, v1
	v_mov_b32_e32 v1, 0
	v_mov_b32_e32 v6, v3
	v_mov_b32_e32 v2, 0
	v_lshl_add_u32 v5, s6, 1, v9
	s_waitcnt lgkmcnt(0)
	v_cmp_lt_u64_e64 s0, s[10:11], 2
	s_and_b32 vcc_lo, exec_lo, s0
	s_cbranch_vccnz .LBB0_8
; %bb.1:
	s_load_dwordx2 s[0:1], s[4:5], 0x10
	v_mov_b32_e32 v1, 0
	s_add_u32 s6, s12, 8
	v_mov_b32_e32 v2, 0
	s_addc_u32 s7, s13, 0
	s_mov_b64 s[16:17], 1
	s_waitcnt lgkmcnt(0)
	s_add_u32 s14, s0, 8
	s_addc_u32 s15, s1, 0
.LBB0_2:                                ; =>This Inner Loop Header: Depth=1
	s_load_dwordx2 s[18:19], s[14:15], 0x0
                                        ; implicit-def: $vgpr7_vgpr8
	s_mov_b32 s0, exec_lo
	s_waitcnt lgkmcnt(0)
	v_or_b32_e32 v4, s19, v6
	v_cmpx_ne_u64_e32 0, v[3:4]
	s_xor_b32 s1, exec_lo, s0
	s_cbranch_execz .LBB0_4
; %bb.3:                                ;   in Loop: Header=BB0_2 Depth=1
	v_cvt_f32_u32_e32 v4, s18
	v_cvt_f32_u32_e32 v7, s19
	s_sub_u32 s0, 0, s18
	s_subb_u32 s20, 0, s19
	v_fmac_f32_e32 v4, 0x4f800000, v7
	v_rcp_f32_e32 v4, v4
	v_mul_f32_e32 v4, 0x5f7ffffc, v4
	v_mul_f32_e32 v7, 0x2f800000, v4
	v_trunc_f32_e32 v7, v7
	v_fmac_f32_e32 v4, 0xcf800000, v7
	v_cvt_u32_f32_e32 v7, v7
	v_cvt_u32_f32_e32 v4, v4
	v_mul_lo_u32 v8, s0, v7
	v_mul_hi_u32 v10, s0, v4
	v_mul_lo_u32 v11, s20, v4
	v_add_nc_u32_e32 v8, v10, v8
	v_mul_lo_u32 v10, s0, v4
	v_add_nc_u32_e32 v8, v8, v11
	v_mul_hi_u32 v11, v4, v10
	v_mul_lo_u32 v12, v4, v8
	v_mul_hi_u32 v13, v4, v8
	v_mul_hi_u32 v14, v7, v10
	v_mul_lo_u32 v10, v7, v10
	v_mul_hi_u32 v15, v7, v8
	v_mul_lo_u32 v8, v7, v8
	v_add_co_u32 v11, vcc_lo, v11, v12
	v_add_co_ci_u32_e32 v12, vcc_lo, 0, v13, vcc_lo
	v_add_co_u32 v10, vcc_lo, v11, v10
	v_add_co_ci_u32_e32 v10, vcc_lo, v12, v14, vcc_lo
	v_add_co_ci_u32_e32 v11, vcc_lo, 0, v15, vcc_lo
	v_add_co_u32 v8, vcc_lo, v10, v8
	v_add_co_ci_u32_e32 v10, vcc_lo, 0, v11, vcc_lo
	v_add_co_u32 v4, vcc_lo, v4, v8
	v_add_co_ci_u32_e32 v7, vcc_lo, v7, v10, vcc_lo
	v_mul_hi_u32 v8, s0, v4
	v_mul_lo_u32 v11, s20, v4
	v_mul_lo_u32 v10, s0, v7
	v_add_nc_u32_e32 v8, v8, v10
	v_mul_lo_u32 v10, s0, v4
	v_add_nc_u32_e32 v8, v8, v11
	v_mul_hi_u32 v11, v4, v10
	v_mul_lo_u32 v12, v4, v8
	v_mul_hi_u32 v13, v4, v8
	v_mul_hi_u32 v14, v7, v10
	v_mul_lo_u32 v10, v7, v10
	v_mul_hi_u32 v15, v7, v8
	v_mul_lo_u32 v8, v7, v8
	v_add_co_u32 v11, vcc_lo, v11, v12
	v_add_co_ci_u32_e32 v12, vcc_lo, 0, v13, vcc_lo
	v_add_co_u32 v10, vcc_lo, v11, v10
	v_add_co_ci_u32_e32 v10, vcc_lo, v12, v14, vcc_lo
	v_add_co_ci_u32_e32 v11, vcc_lo, 0, v15, vcc_lo
	v_add_co_u32 v8, vcc_lo, v10, v8
	v_add_co_ci_u32_e32 v10, vcc_lo, 0, v11, vcc_lo
	v_add_co_u32 v4, vcc_lo, v4, v8
	v_add_co_ci_u32_e32 v12, vcc_lo, v7, v10, vcc_lo
	v_mul_hi_u32 v14, v5, v4
	v_mad_u64_u32 v[10:11], null, v6, v4, 0
	v_mad_u64_u32 v[7:8], null, v5, v12, 0
	;; [unrolled: 1-line block ×3, first 2 shown]
	v_add_co_u32 v4, vcc_lo, v14, v7
	v_add_co_ci_u32_e32 v7, vcc_lo, 0, v8, vcc_lo
	v_add_co_u32 v4, vcc_lo, v4, v10
	v_add_co_ci_u32_e32 v4, vcc_lo, v7, v11, vcc_lo
	v_add_co_ci_u32_e32 v7, vcc_lo, 0, v13, vcc_lo
	v_add_co_u32 v4, vcc_lo, v4, v12
	v_add_co_ci_u32_e32 v10, vcc_lo, 0, v7, vcc_lo
	v_mul_lo_u32 v11, s19, v4
	v_mad_u64_u32 v[7:8], null, s18, v4, 0
	v_mul_lo_u32 v12, s18, v10
	v_sub_co_u32 v7, vcc_lo, v5, v7
	v_add3_u32 v8, v8, v12, v11
	v_sub_nc_u32_e32 v11, v6, v8
	v_subrev_co_ci_u32_e64 v11, s0, s19, v11, vcc_lo
	v_add_co_u32 v12, s0, v4, 2
	v_add_co_ci_u32_e64 v13, s0, 0, v10, s0
	v_sub_co_u32 v14, s0, v7, s18
	v_sub_co_ci_u32_e32 v8, vcc_lo, v6, v8, vcc_lo
	v_subrev_co_ci_u32_e64 v11, s0, 0, v11, s0
	v_cmp_le_u32_e32 vcc_lo, s18, v14
	v_cmp_eq_u32_e64 s0, s19, v8
	v_cndmask_b32_e64 v14, 0, -1, vcc_lo
	v_cmp_le_u32_e32 vcc_lo, s19, v11
	v_cndmask_b32_e64 v15, 0, -1, vcc_lo
	v_cmp_le_u32_e32 vcc_lo, s18, v7
	;; [unrolled: 2-line block ×3, first 2 shown]
	v_cndmask_b32_e64 v16, 0, -1, vcc_lo
	v_cmp_eq_u32_e32 vcc_lo, s19, v11
	v_cndmask_b32_e64 v7, v16, v7, s0
	v_cndmask_b32_e32 v11, v15, v14, vcc_lo
	v_add_co_u32 v14, vcc_lo, v4, 1
	v_add_co_ci_u32_e32 v15, vcc_lo, 0, v10, vcc_lo
	v_cmp_ne_u32_e32 vcc_lo, 0, v11
	v_cndmask_b32_e32 v8, v15, v13, vcc_lo
	v_cndmask_b32_e32 v11, v14, v12, vcc_lo
	v_cmp_ne_u32_e32 vcc_lo, 0, v7
	v_cndmask_b32_e32 v8, v10, v8, vcc_lo
	v_cndmask_b32_e32 v7, v4, v11, vcc_lo
.LBB0_4:                                ;   in Loop: Header=BB0_2 Depth=1
	s_andn2_saveexec_b32 s0, s1
	s_cbranch_execz .LBB0_6
; %bb.5:                                ;   in Loop: Header=BB0_2 Depth=1
	v_cvt_f32_u32_e32 v4, s18
	s_sub_i32 s1, 0, s18
	v_rcp_iflag_f32_e32 v4, v4
	v_mul_f32_e32 v4, 0x4f7ffffe, v4
	v_cvt_u32_f32_e32 v4, v4
	v_mul_lo_u32 v7, s1, v4
	v_mul_hi_u32 v7, v4, v7
	v_add_nc_u32_e32 v4, v4, v7
	v_mul_hi_u32 v4, v5, v4
	v_mul_lo_u32 v7, v4, s18
	v_add_nc_u32_e32 v8, 1, v4
	v_sub_nc_u32_e32 v7, v5, v7
	v_subrev_nc_u32_e32 v10, s18, v7
	v_cmp_le_u32_e32 vcc_lo, s18, v7
	v_cndmask_b32_e32 v7, v7, v10, vcc_lo
	v_cndmask_b32_e32 v4, v4, v8, vcc_lo
	v_cmp_le_u32_e32 vcc_lo, s18, v7
	v_add_nc_u32_e32 v8, 1, v4
	v_cndmask_b32_e32 v7, v4, v8, vcc_lo
	v_mov_b32_e32 v8, v3
.LBB0_6:                                ;   in Loop: Header=BB0_2 Depth=1
	s_or_b32 exec_lo, exec_lo, s0
	s_load_dwordx2 s[0:1], s[6:7], 0x0
	v_mul_lo_u32 v4, v8, s18
	v_mul_lo_u32 v12, v7, s19
	v_mad_u64_u32 v[10:11], null, v7, s18, 0
	s_add_u32 s16, s16, 1
	s_addc_u32 s17, s17, 0
	s_add_u32 s6, s6, 8
	s_addc_u32 s7, s7, 0
	;; [unrolled: 2-line block ×3, first 2 shown]
	v_add3_u32 v4, v11, v12, v4
	v_sub_co_u32 v5, vcc_lo, v5, v10
	v_sub_co_ci_u32_e32 v4, vcc_lo, v6, v4, vcc_lo
	s_waitcnt lgkmcnt(0)
	v_mul_lo_u32 v6, s1, v5
	v_mul_lo_u32 v4, s0, v4
	v_mad_u64_u32 v[1:2], null, s0, v5, v[1:2]
	v_cmp_ge_u64_e64 s0, s[16:17], s[10:11]
	s_and_b32 vcc_lo, exec_lo, s0
	v_add3_u32 v2, v6, v2, v4
	s_cbranch_vccnz .LBB0_9
; %bb.7:                                ;   in Loop: Header=BB0_2 Depth=1
	v_mov_b32_e32 v5, v7
	v_mov_b32_e32 v6, v8
	s_branch .LBB0_2
.LBB0_8:
	v_mov_b32_e32 v8, v6
	v_mov_b32_e32 v7, v5
.LBB0_9:
	s_lshl_b64 s[0:1], s[10:11], 3
	v_mul_hi_u32 v3, 0x2492493, v0
	s_add_u32 s0, s12, s0
	s_addc_u32 s1, s13, s1
	s_load_dwordx2 s[0:1], s[0:1], 0x0
	s_load_dwordx2 s[4:5], s[4:5], 0x20
	v_mul_u32_u24_e32 v3, 0x70, v3
	v_sub_nc_u32_e32 v0, v0, v3
	s_waitcnt lgkmcnt(0)
	v_mul_lo_u32 v4, s0, v8
	v_mul_lo_u32 v5, s1, v7
	v_mad_u64_u32 v[1:2], null, s0, v7, v[1:2]
	v_cmp_gt_u64_e32 vcc_lo, s[4:5], v[7:8]
	v_cmp_le_u64_e64 s0, s[4:5], v[7:8]
                                        ; implicit-def: $sgpr4
	v_add3_u32 v2, v5, v2, v4
	v_or_b32_e32 v4, 0x380, v0
	s_and_saveexec_b32 s1, s0
	s_xor_b32 s0, exec_lo, s1
; %bb.10:
	v_or_b32_e32 v4, 0x380, v0
	s_mov_b32 s4, 0
; %bb.11:
	s_or_saveexec_b32 s1, s0
	v_lshlrev_b64 v[2:3], 2, v[1:2]
	v_mov_b32_e32 v12, s4
	v_mov_b32_e32 v22, s4
	;; [unrolled: 1-line block ×9, first 2 shown]
                                        ; implicit-def: $vgpr31
                                        ; implicit-def: $vgpr27
                                        ; implicit-def: $vgpr29
                                        ; implicit-def: $vgpr11
                                        ; implicit-def: $vgpr30
                                        ; implicit-def: $vgpr23
                                        ; implicit-def: $vgpr28
                                        ; implicit-def: $vgpr21
                                        ; implicit-def: $vgpr25
                                        ; implicit-def: $vgpr18
                                        ; implicit-def: $vgpr26
                                        ; implicit-def: $vgpr16
                                        ; implicit-def: $vgpr24
                                        ; implicit-def: $vgpr14
                                        ; implicit-def: $vgpr19
                                        ; implicit-def: $vgpr6
                                        ; implicit-def: $vgpr20
                                        ; implicit-def: $vgpr8
	s_xor_b32 exec_lo, exec_lo, s1
	s_cbranch_execz .LBB0_13
; %bb.12:
	v_mov_b32_e32 v1, 0
	v_add_co_u32 v14, s0, s2, v2
	v_add_co_ci_u32_e64 v15, s0, s3, v3, s0
	v_lshlrev_b64 v[5:6], 2, v[0:1]
	v_or_b32_e32 v7, 0x700, v0
	v_mov_b32_e32 v8, v1
	v_add_co_u32 v19, s0, v14, v5
	v_add_co_ci_u32_e64 v20, s0, v15, v6, s0
	v_lshlrev_b64 v[6:7], 2, v[7:8]
	v_add_co_u32 v24, s0, 0x800, v19
	v_add_co_ci_u32_e64 v25, s0, 0, v20, s0
	v_add_co_u32 v12, s0, 0x1000, v19
	v_add_co_ci_u32_e64 v13, s0, 0, v20, s0
	v_add_co_u32 v6, s0, v14, v6
	v_add_co_ci_u32_e64 v7, s0, v15, v7, s0
	v_mov_b32_e32 v5, v1
	v_add_co_u32 v28, s0, 0x1800, v19
	global_load_dword v6, v[6:7], off
	v_add_co_ci_u32_e64 v29, s0, 0, v20, s0
	v_lshlrev_b64 v[10:11], 2, v[4:5]
	v_add_co_u32 v30, s0, v14, v10
	v_add_co_ci_u32_e64 v31, s0, v15, v11, s0
	s_clause 0x10
	global_load_dword v27, v[24:25], off offset:1984
	global_load_dword v11, v[12:13], off offset:384
	;; [unrolled: 1-line block ×8, first 2 shown]
	global_load_dword v12, v[19:20], off
	global_load_dword v22, v[19:20], off offset:448
	global_load_dword v17, v[19:20], off offset:896
	;; [unrolled: 1-line block ×7, first 2 shown]
	global_load_dword v5, v[30:31], off
	s_waitcnt vmcnt(16)
	v_lshrrev_b32_e32 v31, 16, v27
	s_waitcnt vmcnt(15)
	v_lshrrev_b32_e32 v29, 16, v11
	;; [unrolled: 2-line block ×7, first 2 shown]
	v_lshrrev_b32_e32 v19, 16, v6
	s_waitcnt vmcnt(9)
	v_lshrrev_b32_e32 v20, 16, v8
.LBB0_13:
	s_or_b32 exec_lo, exec_lo, s1
	v_and_b32_e32 v9, 1, v9
	s_waitcnt vmcnt(4)
	v_sub_f16_e32 v18, v13, v18
	s_waitcnt vmcnt(3)
	v_sub_f16_e32 v38, v10, v16
	v_sub_f16_e32 v27, v12, v27
	v_sub_f16_e32 v34, v22, v11
	v_cmp_eq_u32_e64 s0, 1, v9
	v_lshrrev_b32_e32 v36, 16, v13
	v_lshrrev_b32_e32 v37, 16, v10
	v_fma_f16 v39, v13, 2.0, -v18
	s_waitcnt vmcnt(2)
	v_lshrrev_b32_e32 v13, 16, v7
	v_cndmask_b32_e64 v11, 0, 0xfc0, s0
	v_fma_f16 v40, v10, 2.0, -v38
	s_waitcnt vmcnt(1)
	v_lshrrev_b32_e32 v10, 16, v1
	v_sub_f16_e32 v6, v1, v6
	v_lshrrev_b32_e32 v32, 16, v12
	v_lshrrev_b32_e32 v33, 16, v22
	;; [unrolled: 1-line block ×3, first 2 shown]
	v_fma_f16 v9, v12, 2.0, -v27
	v_fma_f16 v12, v22, 2.0, -v34
	v_sub_f16_e32 v22, v17, v23
	v_sub_f16_e32 v21, v15, v21
	;; [unrolled: 1-line block ×4, first 2 shown]
	s_waitcnt vmcnt(0)
	v_lshrrev_b32_e32 v14, 16, v5
	v_sub_f16_e32 v19, v10, v19
	v_fma_f16 v43, v1, 2.0, -v6
	v_add_nc_u32_e32 v16, 0, v11
	v_add_nc_u32_e32 v1, 0x70, v0
	v_sub_f16_e32 v23, v35, v30
	v_lshrrev_b32_e32 v30, 16, v15
	v_fma_f16 v17, v17, 2.0, -v22
	v_fma_f16 v15, v15, 2.0, -v21
	;; [unrolled: 1-line block ×3, first 2 shown]
	v_sub_f16_e32 v8, v5, v8
	v_sub_f16_e32 v20, v14, v20
	v_fma_f16 v44, v10, 2.0, -v19
	v_lshl_add_u32 v47, v0, 2, v16
	v_pack_b32_f16 v9, v9, v27
	v_lshl_add_u32 v27, v1, 2, v16
	v_pack_b32_f16 v12, v12, v34
	v_add_nc_u32_e32 v10, 0xe0, v0
	v_add_nc_u32_e32 v13, 0x1c0, v0
	v_sub_f16_e32 v31, v32, v31
	v_fma_f16 v7, v7, 2.0, -v41
	v_fma_f16 v45, v5, 2.0, -v8
	v_fma_f16 v46, v14, 2.0, -v20
	ds_write_b32 v47, v9
	v_add_nc_u32_e32 v14, 0x150, v0
	ds_write_b32 v27, v12
	v_lshl_add_u32 v34, v10, 2, v16
	v_pack_b32_f16 v9, v17, v22
	v_pack_b32_f16 v12, v15, v21
	v_lshl_add_u32 v21, v13, 2, v16
	v_pack_b32_f16 v18, v39, v18
	v_add_nc_u32_e32 v15, 0x230, v0
	v_sub_f16_e32 v29, v33, v29
	v_add_nc_u32_e32 v22, 0x2a0, v0
	v_add_nc_u32_e32 v39, 0x310, v0
	v_sub_f16_e32 v28, v30, v28
	v_sub_f16_e32 v25, v36, v25
	v_fma_f16 v32, v32, 2.0, -v31
	v_sub_f16_e32 v26, v37, v26
	v_lshlrev_b32_e32 v5, 1, v0
	v_lshl_add_u32 v17, v14, 2, v16
	ds_write_b32 v34, v9
	ds_write_b32 v21, v18
	v_lshl_add_u32 v18, v15, 2, v16
	v_pack_b32_f16 v9, v40, v38
	v_pack_b32_f16 v7, v7, v41
	v_lshl_add_u32 v41, v4, 2, v16
	v_pack_b32_f16 v8, v45, v8
	v_lshlrev_b32_e32 v4, 1, v4
	v_fma_f16 v33, v33, 2.0, -v29
	v_lshl_add_u32 v38, v22, 2, v16
	v_fma_f16 v35, v35, 2.0, -v23
	v_lshl_add_u32 v40, v39, 2, v16
	v_pack_b32_f16 v6, v43, v6
	v_fma_f16 v30, v30, 2.0, -v28
	v_fma_f16 v36, v36, 2.0, -v25
	;; [unrolled: 1-line block ×3, first 2 shown]
	ds_write_b32 v17, v12
	ds_write_b32 v18, v9
	;; [unrolled: 1-line block ×5, first 2 shown]
	v_add_nc_u32_e32 v9, v16, v5
	v_add3_u32 v8, 0, v5, v11
	v_sub_nc_u32_e32 v12, v41, v4
	v_pack_b32_f16 v6, v32, v31
	v_pack_b32_f16 v7, v33, v29
	;; [unrolled: 1-line block ×5, first 2 shown]
	s_waitcnt lgkmcnt(0)
	s_barrier
	buffer_gl0_inv
	ds_read_u16 v43, v9
	ds_read_u16 v45, v8 offset:224
	ds_read_u16 v48, v8 offset:448
	;; [unrolled: 1-line block ×15, first 2 shown]
	ds_read_u16 v31, v12
	ds_read_u16 v32, v8 offset:3808
	s_waitcnt lgkmcnt(0)
	s_barrier
	buffer_gl0_inv
	ds_write_b32 v47, v6
	ds_write_b32 v27, v7
	ds_write_b32 v34, v23
	ds_write_b32 v17, v28
	ds_write_b32 v21, v25
	v_pack_b32_f16 v6, v37, v26
	v_and_b32_e32 v23, 1, v0
	v_pack_b32_f16 v7, v42, v24
	v_pack_b32_f16 v17, v44, v19
	;; [unrolled: 1-line block ×3, first 2 shown]
	ds_write_b32 v18, v6
	ds_write_b32 v38, v7
	;; [unrolled: 1-line block ×3, first 2 shown]
	v_lshlrev_b32_e32 v6, 2, v23
	v_and_or_b32 v26, 0xfc, v5, v23
	ds_write_b32 v41, v19
	s_waitcnt lgkmcnt(0)
	s_barrier
	buffer_gl0_inv
	global_load_dword v24, v6, s[8:9]
	v_lshlrev_b32_e32 v6, 1, v39
	ds_read_u16 v36, v8 offset:2016
	ds_read_u16 v37, v8 offset:2240
	;; [unrolled: 1-line block ×8, first 2 shown]
	ds_read_u16 v46, v12
	ds_read_u16 v47, v8 offset:3808
	ds_read_u16 v62, v9
	ds_read_u16 v63, v8 offset:224
	ds_read_u16 v64, v8 offset:448
	;; [unrolled: 1-line block ×7, first 2 shown]
	v_lshlrev_b32_e32 v7, 1, v1
	v_lshlrev_b32_e32 v17, 1, v10
	v_and_b32_e32 v25, 3, v0
	v_lshlrev_b32_e32 v18, 1, v14
	v_lshlrev_b32_e32 v19, 1, v13
	;; [unrolled: 1-line block ×4, first 2 shown]
	v_lshl_add_u32 v26, v26, 1, v16
	v_and_or_b32 v28, 0x1fc, v7, v23
	v_and_or_b32 v29, 0x3fc, v17, v23
	;; [unrolled: 1-line block ×3, first 2 shown]
	v_lshlrev_b32_e32 v27, 2, v25
	v_and_or_b32 v30, 0x3fc, v18, v23
	v_and_or_b32 v33, 0x7fc, v19, v23
	;; [unrolled: 1-line block ×5, first 2 shown]
	s_waitcnt vmcnt(0) lgkmcnt(0)
	s_barrier
	buffer_gl0_inv
	v_lshl_add_u32 v28, v28, 1, v16
	v_lshl_add_u32 v29, v29, 1, v16
	;; [unrolled: 1-line block ×8, first 2 shown]
	v_cmp_gt_u32_e64 s0, 0x60, v0
	v_mul_f16_sdwa v70, v36, v24 dst_sel:DWORD dst_unused:UNUSED_PAD src0_sel:DWORD src1_sel:WORD_1
	v_mul_f16_sdwa v71, v54, v24 dst_sel:DWORD dst_unused:UNUSED_PAD src0_sel:DWORD src1_sel:WORD_1
	;; [unrolled: 1-line block ×18, first 2 shown]
	v_fma_f16 v54, v54, v24, -v70
	v_fmac_f16_e32 v71, v36, v24
	v_fma_f16 v36, v55, v24, -v72
	v_fmac_f16_e32 v73, v37, v24
	;; [unrolled: 2-line block ×7, first 2 shown]
	v_fma_f16 v42, v61, v24, -v84
	v_fma_f16 v32, v32, v24, -v86
	v_fmac_f16_e32 v85, v44, v24
	v_fmac_f16_e32 v87, v47, v24
	v_sub_f16_e32 v24, v43, v54
	v_sub_f16_e32 v36, v45, v36
	;; [unrolled: 1-line block ×18, first 2 shown]
	v_fma_f16 v43, v43, 2.0, -v24
	ds_write_b16 v26, v24 offset:4
	v_fma_f16 v24, v45, 2.0, -v36
	v_fma_f16 v45, v48, 2.0, -v37
	v_fma_f16 v48, v62, 2.0, -v44
	v_fma_f16 v61, v63, 2.0, -v47
	v_fma_f16 v49, v49, 2.0, -v38
	v_fma_f16 v50, v50, 2.0, -v39
	v_fma_f16 v51, v51, 2.0, -v40
	v_fma_f16 v52, v52, 2.0, -v41
	v_fma_f16 v53, v53, 2.0, -v42
	v_fma_f16 v31, v31, 2.0, -v32
	v_fma_f16 v62, v64, 2.0, -v54
	v_fma_f16 v63, v65, 2.0, -v55
	v_fma_f16 v64, v66, 2.0, -v56
	v_fma_f16 v65, v67, 2.0, -v57
	v_fma_f16 v66, v68, 2.0, -v58
	v_fma_f16 v67, v69, 2.0, -v59
	v_fma_f16 v46, v46, 2.0, -v60
	ds_write_b16 v26, v43
	ds_write_b16 v28, v24
	ds_write_b16 v28, v36 offset:4
	ds_write_b16 v29, v45
	ds_write_b16 v29, v37 offset:4
	;; [unrolled: 2-line block ×8, first 2 shown]
	s_waitcnt lgkmcnt(0)
	s_barrier
	buffer_gl0_inv
	ds_read_u16 v24, v9
	ds_read_u16 v31, v8 offset:224
	ds_read_u16 v32, v8 offset:448
	;; [unrolled: 1-line block ×15, first 2 shown]
	ds_read_u16 v53, v12
	ds_read_u16 v68, v8 offset:3808
	s_waitcnt lgkmcnt(0)
	s_barrier
	buffer_gl0_inv
	ds_write_b16 v26, v48
	ds_write_b16 v26, v44 offset:4
	ds_write_b16 v28, v61
	ds_write_b16 v28, v47 offset:4
	;; [unrolled: 2-line block ×9, first 2 shown]
	s_waitcnt lgkmcnt(0)
	s_barrier
	buffer_gl0_inv
	global_load_dword v22, v27, s[8:9] offset:8
	ds_read_u16 v46, v8 offset:2016
	ds_read_u16 v47, v8 offset:2240
	;; [unrolled: 1-line block ×8, first 2 shown]
	ds_read_u16 v59, v12
	ds_read_u16 v60, v8 offset:3808
	ds_read_u16 v61, v9
	ds_read_u16 v62, v8 offset:224
	ds_read_u16 v63, v8 offset:448
	;; [unrolled: 1-line block ×7, first 2 shown]
	v_and_or_b32 v26, 0xf8, v5, v25
	v_and_b32_e32 v23, 7, v0
	v_and_or_b32 v29, 0x1f8, v7, v25
	v_and_or_b32 v30, 0x3f8, v17, v25
	;; [unrolled: 1-line block ×3, first 2 shown]
	v_lshl_add_u32 v26, v26, 1, v16
	v_and_or_b32 v33, 0x3f8, v18, v25
	v_and_or_b32 v34, 0x7f8, v19, v25
	;; [unrolled: 1-line block ×5, first 2 shown]
	v_lshlrev_b32_e32 v28, 2, v23
	s_waitcnt vmcnt(0) lgkmcnt(0)
	s_barrier
	buffer_gl0_inv
	v_lshl_add_u32 v29, v29, 1, v16
	v_lshl_add_u32 v30, v30, 1, v16
	;; [unrolled: 1-line block ×8, first 2 shown]
	v_mul_f16_sdwa v70, v46, v22 dst_sel:DWORD dst_unused:UNUSED_PAD src0_sel:DWORD src1_sel:WORD_1
	v_mul_f16_sdwa v71, v41, v22 dst_sel:DWORD dst_unused:UNUSED_PAD src0_sel:DWORD src1_sel:WORD_1
	;; [unrolled: 1-line block ×18, first 2 shown]
	v_fma_f16 v41, v41, v22, -v70
	v_fmac_f16_e32 v71, v46, v22
	v_fma_f16 v42, v42, v22, -v72
	v_fma_f16 v43, v43, v22, -v74
	v_fmac_f16_e32 v73, v47, v22
	v_fmac_f16_e32 v75, v48, v22
	v_fma_f16 v45, v45, v22, -v76
	v_fma_f16 v46, v49, v22, -v78
	;; [unrolled: 1-line block ×6, first 2 shown]
	v_fmac_f16_e32 v77, v54, v22
	v_fmac_f16_e32 v79, v55, v22
	;; [unrolled: 1-line block ×6, first 2 shown]
	v_sub_f16_e32 v22, v24, v41
	v_sub_f16_e32 v41, v31, v42
	;; [unrolled: 1-line block ×18, first 2 shown]
	v_fma_f16 v24, v24, 2.0, -v22
	ds_write_b16 v26, v22 offset:8
	v_fma_f16 v22, v31, 2.0, -v41
	v_fma_f16 v31, v32, 2.0, -v42
	v_fma_f16 v32, v61, 2.0, -v43
	v_fma_f16 v61, v62, 2.0, -v51
	v_fma_f16 v36, v36, 2.0, -v45
	v_fma_f16 v37, v37, 2.0, -v46
	v_fma_f16 v38, v38, 2.0, -v47
	v_fma_f16 v39, v39, 2.0, -v48
	v_fma_f16 v40, v40, 2.0, -v49
	v_fma_f16 v53, v53, 2.0, -v50
	v_fma_f16 v62, v63, 2.0, -v52
	v_fma_f16 v63, v64, 2.0, -v54
	v_fma_f16 v64, v65, 2.0, -v55
	v_fma_f16 v65, v66, 2.0, -v56
	v_fma_f16 v66, v67, 2.0, -v57
	v_fma_f16 v67, v69, 2.0, -v58
	v_fma_f16 v59, v59, 2.0, -v60
	ds_write_b16 v26, v24
	ds_write_b16 v29, v22
	ds_write_b16 v29, v41 offset:8
	ds_write_b16 v30, v31
	ds_write_b16 v30, v42 offset:8
	;; [unrolled: 2-line block ×8, first 2 shown]
	s_waitcnt lgkmcnt(0)
	s_barrier
	buffer_gl0_inv
	ds_read_u16 v22, v9
	ds_read_u16 v24, v8 offset:224
	ds_read_u16 v31, v8 offset:448
	;; [unrolled: 1-line block ×15, first 2 shown]
	ds_read_u16 v53, v12
	ds_read_u16 v68, v8 offset:3808
	s_waitcnt lgkmcnt(0)
	s_barrier
	buffer_gl0_inv
	ds_write_b16 v26, v32
	ds_write_b16 v26, v43 offset:8
	ds_write_b16 v29, v61
	ds_write_b16 v29, v51 offset:8
	;; [unrolled: 2-line block ×9, first 2 shown]
	s_waitcnt lgkmcnt(0)
	s_barrier
	buffer_gl0_inv
	global_load_dword v25, v28, s[8:9] offset:24
	ds_read_u16 v44, v8 offset:2016
	ds_read_u16 v51, v8 offset:2240
	;; [unrolled: 1-line block ×8, first 2 shown]
	ds_read_u16 v59, v12
	ds_read_u16 v60, v8 offset:3808
	ds_read_u16 v61, v9
	ds_read_u16 v62, v8 offset:224
	ds_read_u16 v63, v8 offset:448
	;; [unrolled: 1-line block ×7, first 2 shown]
	v_and_or_b32 v27, 0xf0, v5, v23
	v_and_b32_e32 v26, 15, v0
	v_and_or_b32 v30, 0x1f0, v7, v23
	v_and_or_b32 v32, 0x3f0, v17, v23
	;; [unrolled: 1-line block ×3, first 2 shown]
	v_lshl_add_u32 v27, v27, 1, v16
	v_and_or_b32 v33, 0x3f0, v18, v23
	v_and_or_b32 v34, 0x7f0, v19, v23
	;; [unrolled: 1-line block ×5, first 2 shown]
	v_lshlrev_b32_e32 v29, 2, v26
	s_waitcnt vmcnt(0) lgkmcnt(0)
	s_barrier
	buffer_gl0_inv
	v_lshl_add_u32 v30, v30, 1, v16
	v_lshl_add_u32 v32, v32, 1, v16
	;; [unrolled: 1-line block ×8, first 2 shown]
	v_and_or_b32 v17, 0x3e0, v17, v26
	v_and_or_b32 v18, 0x3e0, v18, v26
	;; [unrolled: 1-line block ×9, first 2 shown]
	v_lshl_add_u32 v5, v5, 1, v16
	v_lshl_add_u32 v4, v4, 1, v16
	v_lshl_add_u32 v7, v7, 1, v16
	v_lshl_add_u32 v6, v6, 1, v16
	v_mul_f16_sdwa v70, v44, v25 dst_sel:DWORD dst_unused:UNUSED_PAD src0_sel:DWORD src1_sel:WORD_1
	v_mul_f16_sdwa v71, v41, v25 dst_sel:DWORD dst_unused:UNUSED_PAD src0_sel:DWORD src1_sel:WORD_1
	;; [unrolled: 1-line block ×18, first 2 shown]
	v_fma_f16 v41, v41, v25, -v70
	v_fmac_f16_e32 v71, v44, v25
	v_fma_f16 v42, v42, v25, -v72
	v_fma_f16 v44, v45, v25, -v74
	v_fmac_f16_e32 v73, v51, v25
	v_fmac_f16_e32 v75, v52, v25
	v_fma_f16 v45, v46, v25, -v76
	v_fma_f16 v46, v47, v25, -v78
	;; [unrolled: 1-line block ×6, first 2 shown]
	v_fmac_f16_e32 v77, v54, v25
	v_fmac_f16_e32 v79, v55, v25
	;; [unrolled: 1-line block ×6, first 2 shown]
	v_sub_f16_e32 v25, v22, v41
	v_sub_f16_e32 v41, v24, v42
	;; [unrolled: 1-line block ×18, first 2 shown]
	v_fma_f16 v22, v22, 2.0, -v25
	ds_write_b16 v27, v25 offset:16
	v_fma_f16 v25, v31, 2.0, -v42
	v_fma_f16 v31, v61, 2.0, -v44
	;; [unrolled: 1-line block ×17, first 2 shown]
	ds_write_b16 v27, v22
	ds_write_b16 v30, v24
	ds_write_b16 v30, v41 offset:16
	ds_write_b16 v32, v25
	ds_write_b16 v32, v42 offset:16
	;; [unrolled: 2-line block ×8, first 2 shown]
	s_waitcnt lgkmcnt(0)
	s_barrier
	buffer_gl0_inv
	ds_read_u16 v24, v9
	ds_read_u16 v25, v8 offset:224
	ds_read_u16 v36, v8 offset:448
	;; [unrolled: 1-line block ×15, first 2 shown]
	ds_read_u16 v68, v12
	ds_read_u16 v69, v8 offset:3808
	s_waitcnt lgkmcnt(0)
	s_barrier
	buffer_gl0_inv
	ds_write_b16 v27, v31
	ds_write_b16 v27, v44 offset:16
	ds_write_b16 v30, v61
	ds_write_b16 v30, v51 offset:16
	;; [unrolled: 2-line block ×9, first 2 shown]
	s_waitcnt lgkmcnt(0)
	s_barrier
	buffer_gl0_inv
	global_load_dword v23, v29, s[8:9] offset:56
	v_lshl_add_u32 v44, v17, 1, v16
	v_lshl_add_u32 v51, v18, 1, v16
	;; [unrolled: 1-line block ×5, first 2 shown]
	ds_read_u16 v17, v8 offset:2016
	ds_read_u16 v18, v8 offset:2240
	;; [unrolled: 1-line block ×8, first 2 shown]
	ds_read_u16 v29, v12
	ds_read_u16 v30, v8 offset:3808
	ds_read_u16 v31, v9
	ds_read_u16 v32, v8 offset:224
	ds_read_u16 v33, v8 offset:448
	;; [unrolled: 1-line block ×7, first 2 shown]
	v_and_b32_e32 v22, 31, v0
	s_waitcnt vmcnt(0) lgkmcnt(0)
	s_barrier
	buffer_gl0_inv
	v_lshlrev_b32_e32 v43, 3, v22
	v_mul_f16_sdwa v59, v17, v23 dst_sel:DWORD dst_unused:UNUSED_PAD src0_sel:DWORD src1_sel:WORD_1
	v_mul_f16_sdwa v60, v42, v23 dst_sel:DWORD dst_unused:UNUSED_PAD src0_sel:DWORD src1_sel:WORD_1
	v_mul_f16_sdwa v61, v18, v23 dst_sel:DWORD dst_unused:UNUSED_PAD src0_sel:DWORD src1_sel:WORD_1
	v_mul_f16_sdwa v62, v45, v23 dst_sel:DWORD dst_unused:UNUSED_PAD src0_sel:DWORD src1_sel:WORD_1
	v_mul_f16_sdwa v63, v19, v23 dst_sel:DWORD dst_unused:UNUSED_PAD src0_sel:DWORD src1_sel:WORD_1
	v_mul_f16_sdwa v64, v46, v23 dst_sel:DWORD dst_unused:UNUSED_PAD src0_sel:DWORD src1_sel:WORD_1
	v_mul_f16_sdwa v65, v20, v23 dst_sel:DWORD dst_unused:UNUSED_PAD src0_sel:DWORD src1_sel:WORD_1
	v_mul_f16_sdwa v66, v47, v23 dst_sel:DWORD dst_unused:UNUSED_PAD src0_sel:DWORD src1_sel:WORD_1
	v_mul_f16_sdwa v67, v21, v23 dst_sel:DWORD dst_unused:UNUSED_PAD src0_sel:DWORD src1_sel:WORD_1
	v_mul_f16_sdwa v70, v48, v23 dst_sel:DWORD dst_unused:UNUSED_PAD src0_sel:DWORD src1_sel:WORD_1
	v_mul_f16_sdwa v71, v26, v23 dst_sel:DWORD dst_unused:UNUSED_PAD src0_sel:DWORD src1_sel:WORD_1
	v_mul_f16_sdwa v72, v49, v23 dst_sel:DWORD dst_unused:UNUSED_PAD src0_sel:DWORD src1_sel:WORD_1
	v_mul_f16_sdwa v73, v27, v23 dst_sel:DWORD dst_unused:UNUSED_PAD src0_sel:DWORD src1_sel:WORD_1
	v_mul_f16_sdwa v74, v50, v23 dst_sel:DWORD dst_unused:UNUSED_PAD src0_sel:DWORD src1_sel:WORD_1
	v_mul_f16_sdwa v75, v28, v23 dst_sel:DWORD dst_unused:UNUSED_PAD src0_sel:DWORD src1_sel:WORD_1
	v_mul_f16_sdwa v76, v53, v23 dst_sel:DWORD dst_unused:UNUSED_PAD src0_sel:DWORD src1_sel:WORD_1
	v_mul_f16_sdwa v77, v30, v23 dst_sel:DWORD dst_unused:UNUSED_PAD src0_sel:DWORD src1_sel:WORD_1
	v_mul_f16_sdwa v78, v69, v23 dst_sel:DWORD dst_unused:UNUSED_PAD src0_sel:DWORD src1_sel:WORD_1
	v_fma_f16 v42, v42, v23, -v59
	v_fmac_f16_e32 v60, v17, v23
	v_fma_f16 v17, v45, v23, -v61
	v_fmac_f16_e32 v62, v18, v23
	;; [unrolled: 2-line block ×9, first 2 shown]
	v_sub_f16_e32 v23, v24, v42
	v_sub_f16_e32 v42, v31, v60
	v_sub_f16_e32 v17, v25, v17
	v_sub_f16_e32 v45, v32, v62
	v_sub_f16_e32 v18, v36, v18
	v_sub_f16_e32 v46, v33, v64
	v_sub_f16_e32 v19, v37, v19
	v_sub_f16_e32 v47, v34, v66
	v_sub_f16_e32 v20, v38, v20
	v_sub_f16_e32 v48, v35, v70
	v_sub_f16_e32 v21, v39, v21
	v_sub_f16_e32 v26, v40, v26
	v_sub_f16_e32 v50, v57, v74
	v_sub_f16_e32 v27, v41, v27
	v_sub_f16_e32 v49, v56, v72
	v_sub_f16_e32 v53, v58, v76
	v_sub_f16_e32 v28, v68, v28
	v_sub_f16_e32 v59, v29, v78
	v_fma_f16 v60, v31, 2.0, -v42
	v_fma_f16 v24, v24, 2.0, -v23
	;; [unrolled: 1-line block ×18, first 2 shown]
	ds_write_b16 v5, v23 offset:32
	ds_write_b16 v5, v24
	ds_write_b16 v7, v25
	ds_write_b16 v7, v17 offset:32
	ds_write_b16 v44, v30
	ds_write_b16 v44, v18 offset:32
	;; [unrolled: 2-line block ×8, first 2 shown]
	s_waitcnt lgkmcnt(0)
	s_barrier
	buffer_gl0_inv
	ds_read_u16 v23, v9
	ds_read_u16 v20, v8 offset:224
	ds_read_u16 v19, v8 offset:448
	;; [unrolled: 1-line block ×15, first 2 shown]
	ds_read_u16 v33, v12
	ds_read_u16 v27, v8 offset:3808
	s_waitcnt lgkmcnt(0)
	s_barrier
	buffer_gl0_inv
	ds_write_b16 v5, v60
	ds_write_b16 v5, v42 offset:32
	ds_write_b16 v7, v61
	ds_write_b16 v7, v45 offset:32
	;; [unrolled: 2-line block ×9, first 2 shown]
	v_and_b32_e32 v40, 31, v15
	v_and_b32_e32 v41, 31, v14
	s_waitcnt lgkmcnt(0)
	s_barrier
	buffer_gl0_inv
	global_load_dwordx2 v[4:5], v43, s[8:9] offset:120
	v_lshlrev_b32_e32 v6, 3, v40
	v_lshlrev_b32_e32 v7, 3, v41
	v_and_b32_e32 v45, 31, v1
	s_clause 0x5
	global_load_dword v36, v6, s[8:9] offset:120
	global_load_dword v38, v6, s[8:9] offset:122
	;; [unrolled: 1-line block ×3, first 2 shown]
	global_load_ushort v39, v7, s[8:9] offset:122
	global_load_ushort v44, v7, s[8:9] offset:126
	;; [unrolled: 1-line block ×3, first 2 shown]
	v_lshlrev_b32_e32 v6, 3, v45
	s_clause 0x2
	global_load_ushort v47, v6, s[8:9] offset:120
	global_load_ushort v48, v7, s[8:9] offset:120
	global_load_ushort v49, v7, s[8:9] offset:124
	v_add_nc_u32_e32 v6, 0xffffffa0, v0
	v_lshrrev_b32_e32 v42, 5, v0
	v_mov_b32_e32 v43, 0xaaab
	v_lshrrev_b32_e32 v55, 5, v15
	v_lshrrev_b32_e32 v51, 5, v1
	v_cndmask_b32_e64 v6, v6, v0, s0
	v_lshrrev_b32_e32 v52, 5, v14
	v_lshrrev_b32_e32 v53, 5, v10
	;; [unrolled: 1-line block ×3, first 2 shown]
	v_mov_b32_e32 v7, 0
	v_mul_u32_u24_e32 v42, 0x60, v42
	v_mul_u32_u24_sdwa v57, v10, v43 dst_sel:DWORD dst_unused:UNUSED_PAD src0_sel:WORD_0 src1_sel:DWORD
	v_mul_u32_u24_sdwa v58, v14, v43 dst_sel:DWORD dst_unused:UNUSED_PAD src0_sel:WORD_0 src1_sel:DWORD
	;; [unrolled: 1-line block ×4, first 2 shown]
	v_lshlrev_b32_e32 v6, 1, v6
	v_mul_u32_u24_e32 v55, 0x60, v55
	v_and_b32_e32 v56, 0xff, v1
	v_mul_u32_u24_e32 v51, 0x60, v51
	v_mul_u32_u24_e32 v52, 0x60, v52
	;; [unrolled: 1-line block ×4, first 2 shown]
	v_or_b32_e32 v60, v42, v22
	v_lshrrev_b32_e32 v61, 22, v43
	v_lshlrev_b64 v[42:43], 2, v[6:7]
	v_or_b32_e32 v40, v55, v40
	v_mul_lo_u16 v56, 0xab, v56
	v_or_b32_e32 v7, v51, v45
	v_or_b32_e32 v41, v52, v41
	;; [unrolled: 1-line block ×4, first 2 shown]
	v_lshl_add_u32 v51, v60, 1, v16
	v_lshl_add_u32 v60, v40, 1, v16
	v_add_co_u32 v40, s0, s8, v42
	v_lshrrev_b16 v52, 14, v56
	v_lshl_add_u32 v7, v7, 1, v16
	v_lshl_add_u32 v45, v45, 1, v16
	;; [unrolled: 1-line block ×4, first 2 shown]
	v_add_co_ci_u32_e64 v41, s0, s9, v43, s0
	ds_read_u16 v16, v12
	ds_read_u16 v43, v8 offset:1344
	ds_read_u16 v62, v8 offset:1568
	ds_read_u16 v63, v8 offset:2688
	ds_read_u16 v64, v8 offset:2240
	ds_read_u16 v65, v8 offset:2912
	ds_read_u16 v66, v8 offset:3136
	ds_read_u16 v67, v8 offset:3360
	ds_read_u16 v68, v8 offset:3584
	ds_read_u16 v69, v8 offset:2464
	ds_read_u16 v70, v8 offset:3808
	ds_read_u16 v71, v8 offset:2016
	ds_read_u16 v72, v9
	ds_read_u16 v73, v8 offset:224
	ds_read_u16 v74, v8 offset:448
	;; [unrolled: 1-line block ×5, first 2 shown]
	v_lshrrev_b32_e32 v57, 22, v57
	v_lshrrev_b32_e32 v58, 22, v58
	;; [unrolled: 1-line block ×3, first 2 shown]
	v_mul_lo_u16 v55, 0x60, v52
	s_waitcnt vmcnt(0) lgkmcnt(0)
	v_mul_lo_u16 v53, 0x60, v57
	v_mul_lo_u16 v54, 0x60, v58
	s_barrier
	buffer_gl0_inv
	v_mov_b32_e32 v50, 3
	v_sub_nc_u16 v53, v10, v53
	v_sub_nc_u16 v55, v1, v55
	v_cmp_lt_u32_e64 s0, 0x5f, v0
	v_lshlrev_b32_sdwa v42, v50, v55 dst_sel:DWORD dst_unused:UNUSED_PAD src0_sel:DWORD src1_sel:BYTE_0
	v_mul_f16_sdwa v78, v43, v4 dst_sel:DWORD dst_unused:UNUSED_PAD src0_sel:DWORD src1_sel:WORD_1
	v_mul_f16_sdwa v79, v35, v4 dst_sel:DWORD dst_unused:UNUSED_PAD src0_sel:DWORD src1_sel:WORD_1
	;; [unrolled: 1-line block ×13, first 2 shown]
	v_fma_f16 v35, v35, v4, -v78
	v_lshrrev_b32_e32 v78, 16, v38
	v_fmac_f16_e32 v79, v43, v4
	v_mul_f16_sdwa v43, v65, v37 dst_sel:DWORD dst_unused:UNUSED_PAD src0_sel:DWORD src1_sel:WORD_1
	v_mul_f16_sdwa v91, v29, v36 dst_sel:DWORD dst_unused:UNUSED_PAD src0_sel:DWORD src1_sel:WORD_1
	v_fma_f16 v34, v34, v5, -v80
	v_mul_f16_sdwa v80, v30, v37 dst_sel:DWORD dst_unused:UNUSED_PAD src0_sel:DWORD src1_sel:WORD_1
	v_fmac_f16_e32 v83, v16, v4
	v_mul_f16_e32 v16, v69, v38
	v_fma_f16 v32, v32, v5, -v84
	v_mul_f16_e32 v84, v70, v46
	v_fmac_f16_e32 v81, v63, v5
	v_mul_f16_e32 v63, v71, v39
	v_mul_f16_e32 v39, v24, v39
	v_fma_f16 v33, v33, v4, -v82
	v_mul_f16_e32 v82, v67, v44
	v_mul_f16_e32 v44, v25, v44
	;; [unrolled: 1-line block ×4, first 2 shown]
	v_fmac_f16_e32 v85, v66, v5
	v_fma_f16 v28, v28, v4, -v86
	v_fmac_f16_e32 v87, v64, v4
	v_fma_f16 v4, v31, v5, -v88
	;; [unrolled: 2-line block ×3, first 2 shown]
	v_fma_f16 v29, v30, v78, -v43
	v_fmac_f16_e32 v91, v62, v47
	v_fmac_f16_e32 v80, v65, v78
	v_fma_f16 v16, v26, v36, -v16
	v_fma_f16 v26, v27, v37, -v84
	;; [unrolled: 1-line block ×3, first 2 shown]
	v_fmac_f16_e32 v39, v71, v48
	v_fma_f16 v25, v25, v49, -v82
	v_fmac_f16_e32 v44, v67, v49
	v_fmac_f16_e32 v38, v69, v36
	;; [unrolled: 1-line block ×3, first 2 shown]
	v_add_f16_e32 v30, v35, v34
	v_add_f16_e32 v37, v79, v81
	;; [unrolled: 1-line block ×6, first 2 shown]
	v_sub_f16_e32 v69, v83, v85
	v_add_f16_e32 v82, v91, v80
	v_add_f16_e32 v84, v74, v83
	;; [unrolled: 1-line block ×4, first 2 shown]
	v_sub_f16_e32 v36, v79, v81
	v_add_f16_e32 v47, v33, v32
	v_add_f16_e32 v62, v24, v25
	v_sub_f16_e32 v70, v39, v44
	v_sub_f16_e32 v71, v87, v89
	;; [unrolled: 1-line block ×3, first 2 shown]
	v_add_f16_e32 v86, v75, v39
	v_add_f16_e32 v39, v39, v44
	;; [unrolled: 1-line block ×6, first 2 shown]
	v_fmac_f16_e32 v23, -0.5, v30
	v_sub_f16_e32 v35, v35, v34
	v_fmac_f16_e32 v72, -0.5, v37
	v_add_f16_e32 v48, v20, v5
	v_add_f16_e32 v49, v19, v33
	v_sub_f16_e32 v68, v91, v80
	v_add_f16_e32 v79, v73, v91
	v_fmac_f16_e32 v20, -0.5, v43
	v_add_f16_e32 v65, v17, v28
	v_add_f16_e32 v67, v21, v16
	v_sub_f16_e32 v5, v5, v29
	v_sub_f16_e32 v33, v33, v32
	v_add_f16_e32 v27, v27, v34
	v_fmac_f16_e32 v17, -0.5, v64
	v_fmac_f16_e32 v21, -0.5, v66
	;; [unrolled: 1-line block ×4, first 2 shown]
	v_add_f16_e32 v63, v18, v24
	v_sub_f16_e32 v24, v24, v25
	v_sub_f16_e32 v28, v28, v4
	;; [unrolled: 1-line block ×3, first 2 shown]
	v_add_f16_e32 v30, v31, v81
	v_fmac_f16_e32 v19, -0.5, v47
	v_fmac_f16_e32 v18, -0.5, v62
	v_fmac_f16_e32 v75, -0.5, v39
	v_fmac_f16_e32 v77, -0.5, v87
	v_fmac_f16_e32 v76, -0.5, v38
	v_fmamk_f16 v38, v36, 0x3aee, v23
	v_fmac_f16_e32 v23, 0xbaee, v36
	v_fmamk_f16 v36, v35, 0xbaee, v72
	v_add_f16_e32 v29, v48, v29
	v_fmac_f16_e32 v72, 0x3aee, v35
	v_add_f16_e32 v31, v49, v32
	v_add_f16_e32 v32, v79, v80
	v_fmamk_f16 v35, v68, 0x3aee, v20
	v_add_f16_e32 v4, v65, v4
	v_fmac_f16_e32 v20, 0xbaee, v68
	v_fmamk_f16 v47, v71, 0x3aee, v17
	v_fmac_f16_e32 v17, 0xbaee, v71
	v_fmamk_f16 v48, v78, 0x3aee, v21
	ds_write_b16 v51, v27
	v_fmamk_f16 v27, v5, 0xbaee, v73
	v_fmac_f16_e32 v73, 0x3aee, v5
	v_fmamk_f16 v5, v33, 0xbaee, v74
	v_add_f16_e32 v25, v63, v25
	v_add_f16_e32 v26, v67, v26
	;; [unrolled: 1-line block ×6, first 2 shown]
	v_fmamk_f16 v44, v69, 0x3aee, v19
	v_fmac_f16_e32 v19, 0xbaee, v69
	v_fmamk_f16 v46, v70, 0x3aee, v18
	v_fmac_f16_e32 v18, 0xbaee, v70
	v_fmac_f16_e32 v21, 0xbaee, v78
	;; [unrolled: 1-line block ×3, first 2 shown]
	v_fmamk_f16 v33, v24, 0xbaee, v75
	v_fmac_f16_e32 v75, 0x3aee, v24
	v_fmamk_f16 v24, v28, 0xbaee, v77
	v_fmac_f16_e32 v77, 0x3aee, v28
	;; [unrolled: 2-line block ×3, first 2 shown]
	ds_write_b16 v51, v38 offset:64
	ds_write_b16 v51, v23 offset:128
	ds_write_b16 v7, v29
	ds_write_b16 v7, v35 offset:64
	ds_write_b16 v7, v20 offset:128
	ds_write_b16 v45, v31
	;; [unrolled: 3-line block ×5, first 2 shown]
	ds_write_b16 v60, v48 offset:64
	ds_write_b16 v60, v21 offset:128
	s_waitcnt lgkmcnt(0)
	s_barrier
	buffer_gl0_inv
	ds_read_u16 v35, v9
	ds_read_u16 v38, v8 offset:224
	ds_read_u16 v64, v8 offset:448
	;; [unrolled: 1-line block ×15, first 2 shown]
	ds_read_u16 v71, v12
	ds_read_u16 v78, v8 offset:3808
	s_waitcnt lgkmcnt(0)
	s_barrier
	buffer_gl0_inv
	ds_write_b16 v51, v30
	ds_write_b16 v51, v36 offset:64
	ds_write_b16 v51, v72 offset:128
	ds_write_b16 v7, v32
	ds_write_b16 v7, v27 offset:64
	ds_write_b16 v7, v73 offset:128
	ds_write_b16 v45, v34
	ds_write_b16 v45, v5 offset:64
	ds_write_b16 v45, v74 offset:128
	ds_write_b16 v56, v37
	ds_write_b16 v56, v33 offset:64
	ds_write_b16 v56, v75 offset:128
	ds_write_b16 v22, v39
	ds_write_b16 v22, v24 offset:64
	ds_write_b16 v22, v77 offset:128
	ds_write_b16 v60, v43
	ds_write_b16 v60, v28 offset:64
	ds_write_b16 v60, v76 offset:128
	v_mul_lo_u16 v4, 0x60, v59
	v_sub_nc_u16 v5, v14, v54
	v_lshlrev_b32_sdwa v7, v50, v53 dst_sel:DWORD dst_unused:UNUSED_PAD src0_sel:DWORD src1_sel:WORD_0
	v_mul_lo_u16 v20, 0x60, v61
	s_waitcnt lgkmcnt(0)
	v_sub_nc_u16 v21, v13, v4
	v_lshlrev_b32_sdwa v4, v50, v5 dst_sel:DWORD dst_unused:UNUSED_PAD src0_sel:DWORD src1_sel:WORD_0
	s_barrier
	buffer_gl0_inv
	s_clause 0x3
	global_load_dwordx2 v[18:19], v[40:41], off offset:376
	global_load_dwordx2 v[25:26], v42, s[8:9] offset:376
	global_load_dwordx2 v[13:14], v7, s[8:9] offset:376
	;; [unrolled: 1-line block ×3, first 2 shown]
	v_sub_nc_u16 v7, v15, v20
	v_lshlrev_b32_sdwa v15, v50, v21 dst_sel:DWORD dst_unused:UNUSED_PAD src0_sel:DWORD src1_sel:WORD_0
	v_and_b32_e32 v22, 0xffff, v52
	v_mad_u32_u24 v20, 0x240, v58, 0
	v_mad_u32_u24 v23, 0x240, v59, 0
	v_lshlrev_b32_sdwa v4, v50, v7 dst_sel:DWORD dst_unused:UNUSED_PAD src0_sel:DWORD src1_sel:WORD_0
	s_clause 0x1
	global_load_dwordx2 v[29:30], v15, s[8:9] offset:376
	global_load_dwordx2 v[31:32], v4, s[8:9] offset:376
	v_cndmask_b32_e64 v4, 0, 0x240, s0
	v_mov_b32_e32 v15, 1
	v_mad_u32_u24 v24, 0x240, v61, 0
	v_mad_u32_u24 v36, 0x240, v22, 0
	v_cmp_gt_u32_e64 s0, 64, v0
	v_add_nc_u32_e32 v4, 0, v4
	v_lshlrev_b32_sdwa v33, v15, v53 dst_sel:DWORD dst_unused:UNUSED_PAD src0_sel:DWORD src1_sel:WORD_0
	v_lshlrev_b32_sdwa v5, v15, v5 dst_sel:DWORD dst_unused:UNUSED_PAD src0_sel:DWORD src1_sel:WORD_0
	;; [unrolled: 1-line block ×4, first 2 shown]
	v_add3_u32 v4, v4, v6, v11
	v_mad_u32_u24 v6, 0x240, v57, 0
	v_lshlrev_b32_sdwa v15, v15, v55 dst_sel:DWORD dst_unused:UNUSED_PAD src0_sel:DWORD src1_sel:BYTE_0
	v_add3_u32 v7, v20, v5, v11
	v_add3_u32 v5, v24, v34, v11
	;; [unrolled: 1-line block ×5, first 2 shown]
	ds_read_u16 v15, v8 offset:2688
	ds_read_u16 v33, v8 offset:1344
	;; [unrolled: 1-line block ×3, first 2 shown]
	ds_read_u16 v36, v12
	ds_read_u16 v37, v8 offset:2016
	ds_read_u16 v50, v8 offset:2240
	;; [unrolled: 1-line block ×8, first 2 shown]
	ds_read_u16 v41, v9
	ds_read_u16 v40, v8 offset:224
	ds_read_u16 v39, v8 offset:448
	;; [unrolled: 1-line block ×5, first 2 shown]
	s_waitcnt vmcnt(0) lgkmcnt(0)
	s_barrier
	buffer_gl0_inv
	v_mul_f16_sdwa v55, v33, v18 dst_sel:DWORD dst_unused:UNUSED_PAD src0_sel:DWORD src1_sel:WORD_1
	v_mul_f16_sdwa v58, v15, v19 dst_sel:DWORD dst_unused:UNUSED_PAD src0_sel:DWORD src1_sel:WORD_1
	;; [unrolled: 1-line block ×17, first 2 shown]
	v_fma_f16 v62, v62, v18, -v55
	v_fma_f16 v63, v63, v19, -v58
	v_mul_f16_sdwa v56, v68, v25 dst_sel:DWORD dst_unused:UNUSED_PAD src0_sel:DWORD src1_sel:WORD_1
	v_mul_f16_sdwa v51, v71, v13 dst_sel:DWORD dst_unused:UNUSED_PAD src0_sel:DWORD src1_sel:WORD_1
	;; [unrolled: 1-line block ×5, first 2 shown]
	v_fma_f16 v60, v68, v25, -v60
	v_fma_f16 v61, v69, v26, -v61
	v_fmac_f16_e32 v53, v54, v26
	v_fma_f16 v55, v71, v13, -v76
	v_fma_f16 v58, v49, v14, -v77
	v_fmac_f16_e32 v45, v57, v14
	v_fma_f16 v54, v47, v27, -v79
	v_fma_f16 v57, v66, v28, -v80
	;; [unrolled: 1-line block ×4, first 2 shown]
	v_mul_f16_sdwa v43, v70, v31 dst_sel:DWORD dst_unused:UNUSED_PAD src0_sel:DWORD src1_sel:WORD_1
	v_mul_f16_sdwa v21, v78, v32 dst_sel:DWORD dst_unused:UNUSED_PAD src0_sel:DWORD src1_sel:WORD_1
	v_fmac_f16_e32 v42, v50, v29
	v_fma_f16 v48, v70, v31, -v83
	v_fma_f16 v50, v78, v32, -v84
	v_fmac_f16_e32 v59, v33, v18
	v_fmac_f16_e32 v52, v15, v19
	v_add_f16_e32 v14, v62, v63
	v_fmac_f16_e32 v56, v34, v25
	v_fmac_f16_e32 v51, v36, v13
	;; [unrolled: 1-line block ×5, first 2 shown]
	v_add_f16_e32 v19, v60, v61
	v_add_f16_e32 v27, v55, v58
	;; [unrolled: 1-line block ×4, first 2 shown]
	v_fmac_f16_e32 v43, v74, v31
	v_fmac_f16_e32 v21, v75, v32
	v_add_f16_e32 v13, v35, v62
	v_add_f16_e32 v37, v48, v50
	v_sub_f16_e32 v15, v59, v52
	v_fmac_f16_e32 v35, -0.5, v14
	v_add_f16_e32 v18, v38, v60
	v_sub_f16_e32 v25, v56, v53
	v_add_f16_e32 v26, v64, v55
	v_sub_f16_e32 v28, v51, v45
	;; [unrolled: 2-line block ×4, first 2 shown]
	v_fmac_f16_e32 v38, -0.5, v19
	v_fmac_f16_e32 v64, -0.5, v27
	;; [unrolled: 1-line block ×4, first 2 shown]
	v_add_f16_e32 v36, v17, v48
	v_sub_f16_e32 v66, v43, v21
	v_fmac_f16_e32 v17, -0.5, v37
	v_add_f16_e32 v19, v13, v63
	v_fmamk_f16 v30, v15, 0x3aee, v35
	v_fmac_f16_e32 v35, 0xbaee, v15
	v_add_f16_e32 v18, v18, v61
	v_add_f16_e32 v26, v26, v58
	;; [unrolled: 1-line block ×4, first 2 shown]
	v_fmamk_f16 v15, v25, 0x3aee, v38
	v_fmac_f16_e32 v38, 0xbaee, v25
	v_fmamk_f16 v25, v28, 0x3aee, v64
	v_fmac_f16_e32 v64, 0xbaee, v28
	;; [unrolled: 2-line block ×3, first 2 shown]
	v_fmamk_f16 v31, v34, 0x3aee, v16
	v_add_f16_e32 v13, v36, v50
	v_fmac_f16_e32 v16, 0xbaee, v34
	v_fmamk_f16 v14, v66, 0x3aee, v17
	v_fmac_f16_e32 v17, 0xbaee, v66
	ds_write_b16 v4, v19
	ds_write_b16 v4, v30 offset:192
	ds_write_b16 v4, v35 offset:384
	ds_write_b16 v23, v18
	ds_write_b16 v23, v15 offset:192
	ds_write_b16 v23, v38 offset:384
	;; [unrolled: 3-line block ×6, first 2 shown]
	s_waitcnt lgkmcnt(0)
	s_barrier
	buffer_gl0_inv
	ds_read_u16 v25, v9
	ds_read_u16 v27, v8 offset:2304
	ds_read_u16 v33, v8 offset:1952
	;; [unrolled: 1-line block ×13, first 2 shown]
                                        ; implicit-def: $vgpr18
                                        ; implicit-def: $vgpr19
                                        ; implicit-def: $vgpr15
	s_and_saveexec_b32 s1, s0
	s_cbranch_execz .LBB0_15
; %bb.14:
	ds_read_u16 v16, v8 offset:448
	ds_read_u16 v13, v8 offset:1024
	;; [unrolled: 1-line block ×7, first 2 shown]
.LBB0_15:
	s_or_b32 exec_lo, exec_lo, s1
	v_sub_f16_e32 v62, v62, v63
	v_add_f16_e32 v63, v56, v53
	v_add_f16_e32 v56, v40, v56
	v_sub_f16_e32 v60, v60, v61
	v_sub_f16_e32 v55, v55, v58
	v_add_f16_e32 v64, v59, v52
	v_fmac_f16_e32 v40, -0.5, v63
	v_add_f16_e32 v53, v56, v53
	v_add_f16_e32 v56, v51, v45
	;; [unrolled: 1-line block ×4, first 2 shown]
	v_fmamk_f16 v61, v60, 0xbaee, v40
	v_fmac_f16_e32 v40, 0x3aee, v60
	v_add_f16_e32 v60, v46, v44
	v_add_f16_e32 v46, v24, v46
	v_fmac_f16_e32 v39, -0.5, v56
	v_add_f16_e32 v45, v51, v45
	v_sub_f16_e32 v51, v54, v57
	v_fmac_f16_e32 v24, -0.5, v60
	v_add_f16_e32 v44, v46, v44
	v_add_f16_e32 v46, v42, v20
	v_fmamk_f16 v54, v55, 0xbaee, v39
	v_fmac_f16_e32 v39, 0x3aee, v55
	v_fmamk_f16 v55, v51, 0xbaee, v24
	v_fmac_f16_e32 v24, 0x3aee, v51
	v_add_f16_e32 v51, v43, v21
	v_fmac_f16_e32 v41, -0.5, v64
	v_add_f16_e32 v42, v11, v42
	v_fmac_f16_e32 v11, -0.5, v46
	v_sub_f16_e32 v46, v47, v49
	v_add_f16_e32 v52, v59, v52
	v_add_f16_e32 v43, v12, v43
	v_fmac_f16_e32 v12, -0.5, v51
	v_sub_f16_e32 v47, v48, v50
	v_fmamk_f16 v59, v62, 0xbaee, v41
	v_fmac_f16_e32 v41, 0x3aee, v62
	v_fmamk_f16 v48, v46, 0xbaee, v11
	v_add_f16_e32 v42, v42, v20
	v_fmac_f16_e32 v11, 0x3aee, v46
	v_add_f16_e32 v20, v43, v21
	v_fmamk_f16 v21, v47, 0xbaee, v12
	v_fmac_f16_e32 v12, 0x3aee, v47
	s_waitcnt lgkmcnt(0)
	s_barrier
	buffer_gl0_inv
	ds_write_b16 v4, v52
	ds_write_b16 v4, v59 offset:192
	ds_write_b16 v4, v41 offset:384
	ds_write_b16 v23, v53
	ds_write_b16 v23, v61 offset:192
	ds_write_b16 v23, v40 offset:384
	;; [unrolled: 3-line block ×6, first 2 shown]
	s_waitcnt lgkmcnt(0)
	s_barrier
	buffer_gl0_inv
	ds_read_u16 v39, v9
	ds_read_u16 v43, v8 offset:2304
	ds_read_u16 v50, v8 offset:1952
	;; [unrolled: 1-line block ×13, first 2 shown]
                                        ; implicit-def: $vgpr22
                                        ; implicit-def: $vgpr24
                                        ; implicit-def: $vgpr23
	s_and_saveexec_b32 s1, s0
	s_cbranch_execz .LBB0_17
; %bb.16:
	ds_read_u16 v11, v8 offset:448
	ds_read_u16 v20, v8 offset:1024
	;; [unrolled: 1-line block ×7, first 2 shown]
.LBB0_17:
	s_or_b32 exec_lo, exec_lo, s1
	s_and_saveexec_b32 s1, vcc_lo
	s_cbranch_execz .LBB0_20
; %bb.18:
	v_mul_u32_u24_e32 v1, 6, v1
	v_add_co_u32 v41, vcc_lo, s2, v2
	v_add_co_ci_u32_e32 v42, vcc_lo, s3, v3, vcc_lo
	v_lshlrev_b32_e32 v1, 2, v1
	s_clause 0x1
	global_load_dwordx4 v[55:58], v1, s[8:9] offset:1144
	global_load_dwordx2 v[63:64], v1, s[8:9] offset:1160
	v_mul_u32_u24_e32 v1, 6, v0
	v_lshlrev_b32_e32 v1, 2, v1
	s_clause 0x1
	global_load_dwordx4 v[59:62], v1, s[8:9] offset:1144
	global_load_dwordx2 v[65:66], v1, s[8:9] offset:1160
	v_mov_b32_e32 v1, 0
	v_lshlrev_b64 v[4:5], 2, v[0:1]
	v_add_co_u32 v4, vcc_lo, v41, v4
	v_add_co_ci_u32_e32 v5, vcc_lo, v42, v5, vcc_lo
	v_add_co_u32 v2, vcc_lo, 0x800, v4
	v_add_co_ci_u32_e32 v3, vcc_lo, 0, v5, vcc_lo
	;; [unrolled: 2-line block ×4, first 2 shown]
	s_waitcnt vmcnt(3) lgkmcnt(7)
	v_mul_f16_sdwa v67, v51, v55 dst_sel:DWORD dst_unused:UNUSED_PAD src0_sel:DWORD src1_sel:WORD_1
	s_waitcnt vmcnt(2) lgkmcnt(4)
	v_mul_f16_sdwa v68, v53, v64 dst_sel:DWORD dst_unused:UNUSED_PAD src0_sel:DWORD src1_sel:WORD_1
	s_waitcnt lgkmcnt(0)
	v_mul_f16_sdwa v69, v54, v58 dst_sel:DWORD dst_unused:UNUSED_PAD src0_sel:DWORD src1_sel:WORD_1
	v_mul_f16_sdwa v70, v50, v57 dst_sel:DWORD dst_unused:UNUSED_PAD src0_sel:DWORD src1_sel:WORD_1
	;; [unrolled: 1-line block ×10, first 2 shown]
	s_waitcnt vmcnt(1)
	v_mul_f16_sdwa v79, v46, v59 dst_sel:DWORD dst_unused:UNUSED_PAD src0_sel:DWORD src1_sel:WORD_1
	s_waitcnt vmcnt(0)
	v_mul_f16_sdwa v80, v49, v66 dst_sel:DWORD dst_unused:UNUSED_PAD src0_sel:DWORD src1_sel:WORD_1
	v_mul_f16_sdwa v81, v43, v62 dst_sel:DWORD dst_unused:UNUSED_PAD src0_sel:DWORD src1_sel:WORD_1
	;; [unrolled: 1-line block ×11, first 2 shown]
	v_fma_f16 v35, v35, v55, -v67
	v_fma_f16 v37, v37, v64, -v68
	;; [unrolled: 1-line block ×6, first 2 shown]
	v_fmac_f16_e32 v73, v53, v64
	v_fmac_f16_e32 v74, v51, v55
	;; [unrolled: 1-line block ×6, first 2 shown]
	v_fma_f16 v30, v30, v59, -v79
	v_fma_f16 v32, v32, v66, -v80
	;; [unrolled: 1-line block ×6, first 2 shown]
	v_fmac_f16_e32 v85, v49, v66
	v_fmac_f16_e32 v86, v46, v59
	;; [unrolled: 1-line block ×6, first 2 shown]
	v_sub_f16_e32 v43, v35, v37
	v_sub_f16_e32 v44, v38, v33
	;; [unrolled: 1-line block ×3, first 2 shown]
	v_add_f16_e32 v46, v74, v73
	v_add_f16_e32 v47, v76, v75
	;; [unrolled: 1-line block ×6, first 2 shown]
	v_sub_f16_e32 v36, v74, v73
	v_sub_f16_e32 v37, v76, v75
	;; [unrolled: 1-line block ×5, first 2 shown]
	v_add_f16_e32 v52, v86, v85
	v_add_f16_e32 v54, v90, v89
	;; [unrolled: 1-line block ×5, first 2 shown]
	v_sub_f16_e32 v51, v29, v31
	v_add_f16_e32 v53, v88, v87
	v_sub_f16_e32 v29, v86, v85
	v_sub_f16_e32 v31, v88, v87
	;; [unrolled: 1-line block ×5, first 2 shown]
	v_add_f16_e32 v44, v44, v45
	v_sub_f16_e32 v58, v47, v48
	v_add_f16_e32 v59, v46, v48
	v_sub_f16_e32 v60, v35, v33
	v_sub_f16_e32 v61, v33, v34
	v_add_f16_e32 v62, v35, v34
	v_sub_f16_e32 v63, v36, v37
	;; [unrolled: 3-line block ×3, first 2 shown]
	v_sub_f16_e32 v34, v34, v35
	v_sub_f16_e32 v35, v38, v36
	v_add_f16_e32 v67, v52, v54
	v_add_f16_e32 v70, v30, v28
	v_sub_f16_e32 v57, v46, v47
	v_sub_f16_e32 v46, v48, v46
	;; [unrolled: 1-line block ×4, first 2 shown]
	v_add_f16_e32 v50, v50, v51
	v_sub_f16_e32 v65, v52, v53
	v_sub_f16_e32 v66, v53, v54
	v_sub_f16_e32 v68, v30, v27
	v_sub_f16_e32 v69, v27, v28
	v_sub_f16_e32 v71, v29, v31
	v_sub_f16_e32 v72, v31, v32
	v_add_f16_e32 v31, v31, v32
	v_sub_f16_e32 v51, v51, v49
	v_sub_f16_e32 v52, v54, v52
	;; [unrolled: 1-line block ×4, first 2 shown]
	v_mul_f16_e32 v32, 0xb846, v56
	v_mul_f16_e32 v54, 0x2b26, v58
	v_add_f16_e32 v47, v47, v59
	v_mul_f16_e32 v56, 0x3a52, v60
	v_mul_f16_e32 v58, 0x2b26, v61
	v_add_f16_e32 v33, v33, v62
	v_mul_f16_e32 v59, 0xb846, v64
	v_add_f16_e32 v36, v36, v37
	v_mul_f16_e32 v37, 0x3b00, v45
	v_mul_f16_e32 v61, 0x3b00, v35
	v_add_f16_e32 v53, v53, v67
	v_add_f16_e32 v27, v27, v70
	;; [unrolled: 1-line block ×3, first 2 shown]
	v_mul_f16_e32 v44, 0x3a52, v57
	v_mul_f16_e32 v48, 0xb846, v48
	v_add_f16_e32 v49, v49, v50
	v_mul_f16_e32 v50, 0x3a52, v65
	v_mul_f16_e32 v62, 0x2b26, v66
	v_mul_f16_e32 v66, 0x2b26, v69
	v_mul_f16_e32 v67, 0xb846, v72
	v_add_f16_e32 v29, v29, v31
	v_mul_f16_e32 v31, 0x3b00, v51
	v_fmamk_f16 v70, v55, 0x3574, v32
	v_add_f16_e32 v40, v40, v47
	v_add_f16_e32 v26, v26, v33
	v_fmamk_f16 v72, v63, 0x3574, v59
	v_fma_f16 v37, v55, 0xb574, -v37
	v_fma_f16 v55, v34, 0xb9e0, -v56
	;; [unrolled: 1-line block ×4, first 2 shown]
	v_add_f16_e32 v39, v39, v53
	v_add_f16_e32 v25, v25, v27
	v_mul_f16_e32 v64, 0x3a52, v68
	v_mul_f16_e32 v69, 0x3b00, v30
	v_fmamk_f16 v57, v57, 0x3a52, v54
	v_fmamk_f16 v60, v60, 0x3a52, v58
	v_fma_f16 v44, v46, 0xb9e0, -v44
	v_fma_f16 v46, v46, 0x39e0, -v54
	;; [unrolled: 1-line block ×4, first 2 shown]
	v_fmamk_f16 v45, v38, 0x3574, v48
	v_fmamk_f16 v54, v65, 0x3a52, v62
	v_fmamk_f16 v58, v68, 0x3a52, v66
	v_fmamk_f16 v59, v71, 0x3574, v67
	v_fma_f16 v31, v38, 0xb574, -v31
	v_fma_f16 v38, v52, 0xb9e0, -v50
	v_fmamk_f16 v47, v47, 0xbcab, v40
	v_fmamk_f16 v33, v33, 0xbcab, v26
	v_fmac_f16_e32 v72, 0x370e, v36
	v_fmac_f16_e32 v56, 0x370e, v36
	;; [unrolled: 1-line block ×3, first 2 shown]
	v_fmamk_f16 v36, v53, 0xbcab, v39
	v_fmamk_f16 v27, v27, 0xbcab, v25
	v_fma_f16 v50, v28, 0xb9e0, -v64
	v_fma_f16 v61, v71, 0xb574, -v69
	;; [unrolled: 1-line block ×6, first 2 shown]
	v_fmac_f16_e32 v70, 0x370e, v43
	v_fmac_f16_e32 v37, 0x370e, v43
	;; [unrolled: 1-line block ×6, first 2 shown]
	v_pack_b32_f16 v25, v25, v39
	v_pack_b32_f16 v26, v26, v40
	v_add_f16_e32 v39, v60, v33
	v_add_f16_e32 v40, v44, v47
	v_add_f16_e32 v43, v55, v33
	v_add_f16_e32 v44, v46, v47
	v_add_f16_e32 v33, v34, v33
	v_add_f16_e32 v34, v54, v36
	v_add_f16_e32 v46, v58, v27
	v_add_f16_e32 v38, v38, v36
	v_fmac_f16_e32 v61, 0x370e, v29
	v_fmac_f16_e32 v30, 0x370e, v29
	v_add_f16_e32 v29, v57, v47
	v_add_f16_e32 v47, v50, v27
	v_fmac_f16_e32 v48, 0x370e, v49
	v_add_f16_e32 v36, v52, v36
	v_add_f16_e32 v27, v28, v27
	;; [unrolled: 1-line block ×3, first 2 shown]
	v_sub_f16_e32 v50, v44, v32
	v_add_f16_e32 v51, v35, v33
	v_add_f16_e32 v32, v32, v44
	v_sub_f16_e32 v33, v33, v35
	v_sub_f16_e32 v35, v40, v37
	v_add_f16_e32 v40, v45, v34
	v_add_f16_e32 v44, v31, v38
	v_sub_f16_e32 v31, v38, v31
	;; [unrolled: 4-line block ×3, first 2 shown]
	v_add_f16_e32 v37, v56, v43
	v_sub_f16_e32 v43, v46, v59
	v_sub_f16_e32 v52, v36, v48
	v_add_f16_e32 v36, v48, v36
	v_sub_f16_e32 v46, v27, v30
	v_add_f16_e32 v27, v30, v27
	v_sub_f16_e32 v30, v47, v61
	global_store_dword v[4:5], v25, off
	global_store_dword v[4:5], v26, off offset:448
	v_add_f16_e32 v25, v70, v29
	v_sub_f16_e32 v26, v39, v72
	v_sub_f16_e32 v29, v29, v70
	v_add_f16_e32 v39, v72, v39
	v_pack_b32_f16 v34, v38, v34
	v_pack_b32_f16 v31, v45, v31
	;; [unrolled: 1-line block ×12, first 2 shown]
	global_store_dword v[4:5], v34, off offset:1152
	global_store_dword v[2:3], v31, off offset:256
	;; [unrolled: 1-line block ×12, first 2 shown]
	s_and_b32 exec_lo, exec_lo, s0
	s_cbranch_execz .LBB0_20
; %bb.19:
	v_subrev_nc_u32_e32 v25, 64, v0
	v_mov_b32_e32 v26, v1
	v_or_b32_e32 v31, 0x200, v0
	v_mov_b32_e32 v32, v1
	v_or_b32_e32 v33, 0x440, v0
	v_cndmask_b32_e64 v10, v25, v10, s0
	v_mov_b32_e32 v34, v1
	v_or_b32_e32 v0, 0x680, v0
	v_lshlrev_b64 v[31:32], 2, v[31:32]
	v_mul_i32_i24_e32 v25, 6, v10
	v_lshlrev_b64 v[33:34], 2, v[33:34]
	v_lshlrev_b64 v[0:1], 2, v[0:1]
	;; [unrolled: 1-line block ×3, first 2 shown]
	v_add_co_u32 v29, vcc_lo, s8, v25
	v_add_co_ci_u32_e32 v30, vcc_lo, s9, v26, vcc_lo
	v_add_co_u32 v31, vcc_lo, v41, v31
	v_add_co_ci_u32_e32 v32, vcc_lo, v42, v32, vcc_lo
	s_clause 0x1
	global_load_dwordx4 v[25:28], v[29:30], off offset:1144
	global_load_dwordx2 v[29:30], v[29:30], off offset:1160
	v_add_co_u32 v33, vcc_lo, v41, v33
	v_add_co_ci_u32_e32 v34, vcc_lo, v42, v34, vcc_lo
	v_add_co_u32 v0, vcc_lo, v41, v0
	v_add_co_ci_u32_e32 v1, vcc_lo, v42, v1, vcc_lo
	s_waitcnt vmcnt(1)
	v_mul_f16_sdwa v10, v20, v25 dst_sel:DWORD dst_unused:UNUSED_PAD src0_sel:DWORD src1_sel:WORD_1
	v_mul_f16_sdwa v35, v13, v25 dst_sel:DWORD dst_unused:UNUSED_PAD src0_sel:DWORD src1_sel:WORD_1
	;; [unrolled: 1-line block ×5, first 2 shown]
	s_waitcnt vmcnt(0)
	v_mul_f16_sdwa v42, v23, v29 dst_sel:DWORD dst_unused:UNUSED_PAD src0_sel:DWORD src1_sel:WORD_1
	v_mul_f16_sdwa v43, v15, v29 dst_sel:DWORD dst_unused:UNUSED_PAD src0_sel:DWORD src1_sel:WORD_1
	;; [unrolled: 1-line block ×7, first 2 shown]
	v_fma_f16 v10, v13, v25, -v10
	v_fmac_f16_e32 v35, v20, v25
	v_fma_f16 v13, v14, v26, -v36
	v_fmac_f16_e32 v37, v21, v26
	v_fma_f16 v14, v17, v27, -v38
	v_fma_f16 v17, v19, v30, -v44
	v_fmac_f16_e32 v45, v24, v30
	v_fma_f16 v15, v15, v29, -v42
	v_fmac_f16_e32 v43, v23, v29
	v_fmac_f16_e32 v39, v12, v27
	v_fma_f16 v12, v18, v28, -v40
	v_fmac_f16_e32 v41, v22, v28
	v_add_f16_e32 v18, v10, v17
	v_add_f16_e32 v19, v35, v45
	;; [unrolled: 1-line block ×4, first 2 shown]
	v_sub_f16_e32 v10, v10, v17
	v_sub_f16_e32 v13, v13, v15
	;; [unrolled: 1-line block ×3, first 2 shown]
	v_add_f16_e32 v22, v14, v12
	v_add_f16_e32 v23, v39, v41
	v_sub_f16_e32 v12, v12, v14
	v_sub_f16_e32 v14, v41, v39
	v_add_f16_e32 v24, v20, v18
	v_add_f16_e32 v25, v21, v19
	v_sub_f16_e32 v17, v35, v45
	v_sub_f16_e32 v26, v20, v18
	;; [unrolled: 1-line block ×7, first 2 shown]
	v_add_f16_e32 v28, v12, v13
	v_add_f16_e32 v29, v14, v15
	v_sub_f16_e32 v30, v12, v13
	v_sub_f16_e32 v35, v14, v15
	;; [unrolled: 1-line block ×3, first 2 shown]
	v_add_f16_e32 v22, v22, v24
	v_add_f16_e32 v23, v23, v25
	v_sub_f16_e32 v15, v15, v17
	v_sub_f16_e32 v12, v10, v12
	;; [unrolled: 1-line block ×3, first 2 shown]
	v_add_f16_e32 v10, v28, v10
	v_add_f16_e32 v17, v29, v17
	v_mul_f16_e32 v18, 0x3a52, v18
	v_mul_f16_e32 v19, 0x3a52, v19
	;; [unrolled: 1-line block ×7, first 2 shown]
	v_add_f16_e32 v16, v16, v22
	v_add_f16_e32 v11, v11, v23
	v_mul_f16_e32 v35, 0x3b00, v15
	v_fmamk_f16 v20, v20, 0x2b26, v18
	v_fmamk_f16 v21, v21, 0x2b26, v19
	v_fma_f16 v24, v26, 0x39e0, -v24
	v_fma_f16 v25, v27, 0x39e0, -v25
	;; [unrolled: 1-line block ×4, first 2 shown]
	v_fmamk_f16 v26, v12, 0x3574, v28
	v_fmamk_f16 v27, v14, 0x3574, v29
	v_fma_f16 v13, v13, 0x3b00, -v28
	v_fma_f16 v12, v12, 0xb574, -v30
	v_fmamk_f16 v22, v22, 0xbcab, v16
	v_fmamk_f16 v23, v23, 0xbcab, v11
	v_fma_f16 v14, v14, 0xb574, -v35
	v_fma_f16 v15, v15, 0x3b00, -v29
	v_fmac_f16_e32 v26, 0x370e, v10
	v_fmac_f16_e32 v27, 0x370e, v17
	;; [unrolled: 1-line block ×4, first 2 shown]
	v_pack_b32_f16 v10, v16, v11
	v_add_f16_e32 v11, v20, v22
	v_add_f16_e32 v16, v21, v23
	v_fmac_f16_e32 v14, 0x370e, v17
	v_add_f16_e32 v18, v18, v22
	v_add_f16_e32 v19, v19, v23
	v_fmac_f16_e32 v15, 0x370e, v17
	v_add_f16_e32 v17, v24, v22
	v_add_f16_e32 v20, v25, v23
	global_store_dword v[4:5], v10, off offset:896
	v_add_f16_e32 v4, v27, v11
	v_sub_f16_e32 v5, v16, v26
	v_add_f16_e32 v10, v14, v18
	v_sub_f16_e32 v21, v19, v12
	v_sub_f16_e32 v22, v17, v15
	v_add_f16_e32 v23, v13, v20
	v_add_f16_e32 v15, v15, v17
	v_sub_f16_e32 v13, v20, v13
	v_sub_f16_e32 v14, v18, v14
	v_add_f16_e32 v12, v12, v19
	v_sub_f16_e32 v11, v11, v27
	v_add_f16_e32 v16, v26, v16
	v_pack_b32_f16 v4, v4, v5
	v_pack_b32_f16 v5, v10, v21
	;; [unrolled: 1-line block ×6, first 2 shown]
	global_store_dword v[31:32], v4, off
	global_store_dword v[2:3], v5, off offset:1152
	global_store_dword v[33:34], v10, off
	global_store_dword v[6:7], v13, off offset:1408
	;; [unrolled: 2-line block ×3, first 2 shown]
.LBB0_20:
	s_endpgm
	.section	.rodata,"a",@progbits
	.p2align	6, 0x0
	.amdhsa_kernel fft_rtc_fwd_len2016_factors_2_2_2_2_2_3_3_7_wgs_224_tpt_112_halfLds_half_ip_CI_unitstride_sbrr_dirReg
		.amdhsa_group_segment_fixed_size 0
		.amdhsa_private_segment_fixed_size 0
		.amdhsa_kernarg_size 88
		.amdhsa_user_sgpr_count 6
		.amdhsa_user_sgpr_private_segment_buffer 1
		.amdhsa_user_sgpr_dispatch_ptr 0
		.amdhsa_user_sgpr_queue_ptr 0
		.amdhsa_user_sgpr_kernarg_segment_ptr 1
		.amdhsa_user_sgpr_dispatch_id 0
		.amdhsa_user_sgpr_flat_scratch_init 0
		.amdhsa_user_sgpr_private_segment_size 0
		.amdhsa_wavefront_size32 1
		.amdhsa_uses_dynamic_stack 0
		.amdhsa_system_sgpr_private_segment_wavefront_offset 0
		.amdhsa_system_sgpr_workgroup_id_x 1
		.amdhsa_system_sgpr_workgroup_id_y 0
		.amdhsa_system_sgpr_workgroup_id_z 0
		.amdhsa_system_sgpr_workgroup_info 0
		.amdhsa_system_vgpr_workitem_id 0
		.amdhsa_next_free_vgpr 92
		.amdhsa_next_free_sgpr 21
		.amdhsa_reserve_vcc 1
		.amdhsa_reserve_flat_scratch 0
		.amdhsa_float_round_mode_32 0
		.amdhsa_float_round_mode_16_64 0
		.amdhsa_float_denorm_mode_32 3
		.amdhsa_float_denorm_mode_16_64 3
		.amdhsa_dx10_clamp 1
		.amdhsa_ieee_mode 1
		.amdhsa_fp16_overflow 0
		.amdhsa_workgroup_processor_mode 1
		.amdhsa_memory_ordered 1
		.amdhsa_forward_progress 0
		.amdhsa_shared_vgpr_count 0
		.amdhsa_exception_fp_ieee_invalid_op 0
		.amdhsa_exception_fp_denorm_src 0
		.amdhsa_exception_fp_ieee_div_zero 0
		.amdhsa_exception_fp_ieee_overflow 0
		.amdhsa_exception_fp_ieee_underflow 0
		.amdhsa_exception_fp_ieee_inexact 0
		.amdhsa_exception_int_div_zero 0
	.end_amdhsa_kernel
	.text
.Lfunc_end0:
	.size	fft_rtc_fwd_len2016_factors_2_2_2_2_2_3_3_7_wgs_224_tpt_112_halfLds_half_ip_CI_unitstride_sbrr_dirReg, .Lfunc_end0-fft_rtc_fwd_len2016_factors_2_2_2_2_2_3_3_7_wgs_224_tpt_112_halfLds_half_ip_CI_unitstride_sbrr_dirReg
                                        ; -- End function
	.section	.AMDGPU.csdata,"",@progbits
; Kernel info:
; codeLenInByte = 14172
; NumSgprs: 23
; NumVgprs: 92
; ScratchSize: 0
; MemoryBound: 0
; FloatMode: 240
; IeeeMode: 1
; LDSByteSize: 0 bytes/workgroup (compile time only)
; SGPRBlocks: 2
; VGPRBlocks: 11
; NumSGPRsForWavesPerEU: 23
; NumVGPRsForWavesPerEU: 92
; Occupancy: 10
; WaveLimiterHint : 1
; COMPUTE_PGM_RSRC2:SCRATCH_EN: 0
; COMPUTE_PGM_RSRC2:USER_SGPR: 6
; COMPUTE_PGM_RSRC2:TRAP_HANDLER: 0
; COMPUTE_PGM_RSRC2:TGID_X_EN: 1
; COMPUTE_PGM_RSRC2:TGID_Y_EN: 0
; COMPUTE_PGM_RSRC2:TGID_Z_EN: 0
; COMPUTE_PGM_RSRC2:TIDIG_COMP_CNT: 0
	.text
	.p2alignl 6, 3214868480
	.fill 48, 4, 3214868480
	.type	__hip_cuid_94846faa5a0384c1,@object ; @__hip_cuid_94846faa5a0384c1
	.section	.bss,"aw",@nobits
	.globl	__hip_cuid_94846faa5a0384c1
__hip_cuid_94846faa5a0384c1:
	.byte	0                               ; 0x0
	.size	__hip_cuid_94846faa5a0384c1, 1

	.ident	"AMD clang version 19.0.0git (https://github.com/RadeonOpenCompute/llvm-project roc-6.4.0 25133 c7fe45cf4b819c5991fe208aaa96edf142730f1d)"
	.section	".note.GNU-stack","",@progbits
	.addrsig
	.addrsig_sym __hip_cuid_94846faa5a0384c1
	.amdgpu_metadata
---
amdhsa.kernels:
  - .args:
      - .actual_access:  read_only
        .address_space:  global
        .offset:         0
        .size:           8
        .value_kind:     global_buffer
      - .offset:         8
        .size:           8
        .value_kind:     by_value
      - .actual_access:  read_only
        .address_space:  global
        .offset:         16
        .size:           8
        .value_kind:     global_buffer
      - .actual_access:  read_only
        .address_space:  global
        .offset:         24
        .size:           8
        .value_kind:     global_buffer
      - .offset:         32
        .size:           8
        .value_kind:     by_value
      - .actual_access:  read_only
        .address_space:  global
        .offset:         40
        .size:           8
        .value_kind:     global_buffer
      - .actual_access:  read_only
        .address_space:  global
        .offset:         48
        .size:           8
        .value_kind:     global_buffer
      - .offset:         56
        .size:           4
        .value_kind:     by_value
      - .actual_access:  read_only
        .address_space:  global
        .offset:         64
        .size:           8
        .value_kind:     global_buffer
      - .actual_access:  read_only
        .address_space:  global
        .offset:         72
        .size:           8
        .value_kind:     global_buffer
      - .address_space:  global
        .offset:         80
        .size:           8
        .value_kind:     global_buffer
    .group_segment_fixed_size: 0
    .kernarg_segment_align: 8
    .kernarg_segment_size: 88
    .language:       OpenCL C
    .language_version:
      - 2
      - 0
    .max_flat_workgroup_size: 224
    .name:           fft_rtc_fwd_len2016_factors_2_2_2_2_2_3_3_7_wgs_224_tpt_112_halfLds_half_ip_CI_unitstride_sbrr_dirReg
    .private_segment_fixed_size: 0
    .sgpr_count:     23
    .sgpr_spill_count: 0
    .symbol:         fft_rtc_fwd_len2016_factors_2_2_2_2_2_3_3_7_wgs_224_tpt_112_halfLds_half_ip_CI_unitstride_sbrr_dirReg.kd
    .uniform_work_group_size: 1
    .uses_dynamic_stack: false
    .vgpr_count:     92
    .vgpr_spill_count: 0
    .wavefront_size: 32
    .workgroup_processor_mode: 1
amdhsa.target:   amdgcn-amd-amdhsa--gfx1030
amdhsa.version:
  - 1
  - 2
...

	.end_amdgpu_metadata
